;; amdgpu-corpus repo=ROCm/rocFFT kind=compiled arch=gfx906 opt=O3
	.text
	.amdgcn_target "amdgcn-amd-amdhsa--gfx906"
	.amdhsa_code_object_version 6
	.protected	fft_rtc_back_len182_factors_13_2_7_wgs_52_tpt_13_sp_op_CI_CI_unitstride_sbrr_dirReg ; -- Begin function fft_rtc_back_len182_factors_13_2_7_wgs_52_tpt_13_sp_op_CI_CI_unitstride_sbrr_dirReg
	.globl	fft_rtc_back_len182_factors_13_2_7_wgs_52_tpt_13_sp_op_CI_CI_unitstride_sbrr_dirReg
	.p2align	8
	.type	fft_rtc_back_len182_factors_13_2_7_wgs_52_tpt_13_sp_op_CI_CI_unitstride_sbrr_dirReg,@function
fft_rtc_back_len182_factors_13_2_7_wgs_52_tpt_13_sp_op_CI_CI_unitstride_sbrr_dirReg: ; @fft_rtc_back_len182_factors_13_2_7_wgs_52_tpt_13_sp_op_CI_CI_unitstride_sbrr_dirReg
; %bb.0:
	s_load_dwordx4 s[8:11], s[4:5], 0x58
	s_load_dwordx4 s[12:15], s[4:5], 0x0
	;; [unrolled: 1-line block ×3, first 2 shown]
	v_mul_u32_u24_e32 v1, 0x13b2, v0
	v_lshrrev_b32_e32 v62, 16, v1
	v_mov_b32_e32 v3, 0
	s_waitcnt lgkmcnt(0)
	v_cmp_lt_u64_e64 s[0:1], s[14:15], 2
	v_mov_b32_e32 v53, 0
	v_lshl_add_u32 v7, s6, 2, v62
	v_mov_b32_e32 v8, v3
	s_and_b64 vcc, exec, s[0:1]
	v_mov_b32_e32 v54, 0
	s_cbranch_vccnz .LBB0_8
; %bb.1:
	s_load_dwordx2 s[0:1], s[4:5], 0x10
	s_add_u32 s2, s18, 8
	s_addc_u32 s3, s19, 0
	s_add_u32 s6, s16, 8
	s_addc_u32 s7, s17, 0
	v_mov_b32_e32 v53, 0
	s_waitcnt lgkmcnt(0)
	s_add_u32 s20, s0, 8
	v_mov_b32_e32 v54, 0
	v_mov_b32_e32 v1, v53
	s_addc_u32 s21, s1, 0
	s_mov_b64 s[22:23], 1
	v_mov_b32_e32 v2, v54
.LBB0_2:                                ; =>This Inner Loop Header: Depth=1
	s_load_dwordx2 s[24:25], s[20:21], 0x0
                                        ; implicit-def: $vgpr5_vgpr6
	s_waitcnt lgkmcnt(0)
	v_or_b32_e32 v4, s25, v8
	v_cmp_ne_u64_e32 vcc, 0, v[3:4]
	s_and_saveexec_b64 s[0:1], vcc
	s_xor_b64 s[26:27], exec, s[0:1]
	s_cbranch_execz .LBB0_4
; %bb.3:                                ;   in Loop: Header=BB0_2 Depth=1
	v_cvt_f32_u32_e32 v4, s24
	v_cvt_f32_u32_e32 v5, s25
	s_sub_u32 s0, 0, s24
	s_subb_u32 s1, 0, s25
	v_mac_f32_e32 v4, 0x4f800000, v5
	v_rcp_f32_e32 v4, v4
	v_mul_f32_e32 v4, 0x5f7ffffc, v4
	v_mul_f32_e32 v5, 0x2f800000, v4
	v_trunc_f32_e32 v5, v5
	v_mac_f32_e32 v4, 0xcf800000, v5
	v_cvt_u32_f32_e32 v5, v5
	v_cvt_u32_f32_e32 v4, v4
	v_mul_lo_u32 v6, s0, v5
	v_mul_hi_u32 v9, s0, v4
	v_mul_lo_u32 v11, s1, v4
	v_mul_lo_u32 v10, s0, v4
	v_add_u32_e32 v6, v9, v6
	v_add_u32_e32 v6, v6, v11
	v_mul_hi_u32 v9, v4, v10
	v_mul_lo_u32 v11, v4, v6
	v_mul_hi_u32 v13, v4, v6
	v_mul_hi_u32 v12, v5, v10
	v_mul_lo_u32 v10, v5, v10
	v_mul_hi_u32 v14, v5, v6
	v_add_co_u32_e32 v9, vcc, v9, v11
	v_addc_co_u32_e32 v11, vcc, 0, v13, vcc
	v_mul_lo_u32 v6, v5, v6
	v_add_co_u32_e32 v9, vcc, v9, v10
	v_addc_co_u32_e32 v9, vcc, v11, v12, vcc
	v_addc_co_u32_e32 v10, vcc, 0, v14, vcc
	v_add_co_u32_e32 v6, vcc, v9, v6
	v_addc_co_u32_e32 v9, vcc, 0, v10, vcc
	v_add_co_u32_e32 v4, vcc, v4, v6
	v_addc_co_u32_e32 v5, vcc, v5, v9, vcc
	v_mul_lo_u32 v6, s0, v5
	v_mul_hi_u32 v9, s0, v4
	v_mul_lo_u32 v10, s1, v4
	v_mul_lo_u32 v11, s0, v4
	v_add_u32_e32 v6, v9, v6
	v_add_u32_e32 v6, v6, v10
	v_mul_lo_u32 v12, v4, v6
	v_mul_hi_u32 v13, v4, v11
	v_mul_hi_u32 v14, v4, v6
	;; [unrolled: 1-line block ×3, first 2 shown]
	v_mul_lo_u32 v11, v5, v11
	v_mul_hi_u32 v9, v5, v6
	v_add_co_u32_e32 v12, vcc, v13, v12
	v_addc_co_u32_e32 v13, vcc, 0, v14, vcc
	v_mul_lo_u32 v6, v5, v6
	v_add_co_u32_e32 v11, vcc, v12, v11
	v_addc_co_u32_e32 v10, vcc, v13, v10, vcc
	v_addc_co_u32_e32 v9, vcc, 0, v9, vcc
	v_add_co_u32_e32 v6, vcc, v10, v6
	v_addc_co_u32_e32 v9, vcc, 0, v9, vcc
	v_add_co_u32_e32 v6, vcc, v4, v6
	v_addc_co_u32_e32 v9, vcc, v5, v9, vcc
	v_mad_u64_u32 v[4:5], s[0:1], v7, v9, 0
	v_mul_hi_u32 v10, v7, v6
	v_add_co_u32_e32 v11, vcc, v10, v4
	v_addc_co_u32_e32 v12, vcc, 0, v5, vcc
	v_mad_u64_u32 v[4:5], s[0:1], v8, v6, 0
	v_mad_u64_u32 v[9:10], s[0:1], v8, v9, 0
	v_add_co_u32_e32 v4, vcc, v11, v4
	v_addc_co_u32_e32 v4, vcc, v12, v5, vcc
	v_addc_co_u32_e32 v5, vcc, 0, v10, vcc
	v_add_co_u32_e32 v9, vcc, v4, v9
	v_addc_co_u32_e32 v6, vcc, 0, v5, vcc
	v_mul_lo_u32 v10, s25, v9
	v_mul_lo_u32 v11, s24, v6
	v_mad_u64_u32 v[4:5], s[0:1], s24, v9, 0
	v_add3_u32 v5, v5, v11, v10
	v_sub_u32_e32 v10, v8, v5
	v_mov_b32_e32 v11, s25
	v_sub_co_u32_e32 v4, vcc, v7, v4
	v_subb_co_u32_e64 v10, s[0:1], v10, v11, vcc
	v_subrev_co_u32_e64 v11, s[0:1], s24, v4
	v_subbrev_co_u32_e64 v10, s[0:1], 0, v10, s[0:1]
	v_cmp_le_u32_e64 s[0:1], s25, v10
	v_cndmask_b32_e64 v12, 0, -1, s[0:1]
	v_cmp_le_u32_e64 s[0:1], s24, v11
	v_cndmask_b32_e64 v11, 0, -1, s[0:1]
	v_cmp_eq_u32_e64 s[0:1], s25, v10
	v_cndmask_b32_e64 v10, v12, v11, s[0:1]
	v_add_co_u32_e64 v11, s[0:1], 2, v9
	v_addc_co_u32_e64 v12, s[0:1], 0, v6, s[0:1]
	v_add_co_u32_e64 v13, s[0:1], 1, v9
	v_addc_co_u32_e64 v14, s[0:1], 0, v6, s[0:1]
	v_subb_co_u32_e32 v5, vcc, v8, v5, vcc
	v_cmp_ne_u32_e64 s[0:1], 0, v10
	v_cmp_le_u32_e32 vcc, s25, v5
	v_cndmask_b32_e64 v10, v14, v12, s[0:1]
	v_cndmask_b32_e64 v12, 0, -1, vcc
	v_cmp_le_u32_e32 vcc, s24, v4
	v_cndmask_b32_e64 v4, 0, -1, vcc
	v_cmp_eq_u32_e32 vcc, s25, v5
	v_cndmask_b32_e32 v4, v12, v4, vcc
	v_cmp_ne_u32_e32 vcc, 0, v4
	v_cndmask_b32_e64 v4, v13, v11, s[0:1]
	v_cndmask_b32_e32 v6, v6, v10, vcc
	v_cndmask_b32_e32 v5, v9, v4, vcc
.LBB0_4:                                ;   in Loop: Header=BB0_2 Depth=1
	s_andn2_saveexec_b64 s[0:1], s[26:27]
	s_cbranch_execz .LBB0_6
; %bb.5:                                ;   in Loop: Header=BB0_2 Depth=1
	v_cvt_f32_u32_e32 v4, s24
	s_sub_i32 s26, 0, s24
	v_rcp_iflag_f32_e32 v4, v4
	v_mul_f32_e32 v4, 0x4f7ffffe, v4
	v_cvt_u32_f32_e32 v4, v4
	v_mul_lo_u32 v5, s26, v4
	v_mul_hi_u32 v5, v4, v5
	v_add_u32_e32 v4, v4, v5
	v_mul_hi_u32 v4, v7, v4
	v_mul_lo_u32 v5, v4, s24
	v_add_u32_e32 v6, 1, v4
	v_sub_u32_e32 v5, v7, v5
	v_subrev_u32_e32 v9, s24, v5
	v_cmp_le_u32_e32 vcc, s24, v5
	v_cndmask_b32_e32 v5, v5, v9, vcc
	v_cndmask_b32_e32 v4, v4, v6, vcc
	v_add_u32_e32 v6, 1, v4
	v_cmp_le_u32_e32 vcc, s24, v5
	v_cndmask_b32_e32 v5, v4, v6, vcc
	v_mov_b32_e32 v6, v3
.LBB0_6:                                ;   in Loop: Header=BB0_2 Depth=1
	s_or_b64 exec, exec, s[0:1]
	v_mul_lo_u32 v4, v6, s24
	v_mul_lo_u32 v11, v5, s25
	v_mad_u64_u32 v[9:10], s[0:1], v5, s24, 0
	s_load_dwordx2 s[0:1], s[6:7], 0x0
	s_load_dwordx2 s[24:25], s[2:3], 0x0
	v_add3_u32 v4, v10, v11, v4
	v_sub_co_u32_e32 v7, vcc, v7, v9
	v_subb_co_u32_e32 v4, vcc, v8, v4, vcc
	s_waitcnt lgkmcnt(0)
	v_mul_lo_u32 v8, s0, v4
	v_mul_lo_u32 v9, s1, v7
	v_mad_u64_u32 v[53:54], s[0:1], s0, v7, v[53:54]
	s_add_u32 s22, s22, 1
	s_addc_u32 s23, s23, 0
	s_add_u32 s2, s2, 8
	v_mul_lo_u32 v4, s24, v4
	v_mul_lo_u32 v10, s25, v7
	v_mad_u64_u32 v[1:2], s[0:1], s24, v7, v[1:2]
	v_add3_u32 v54, v9, v54, v8
	s_addc_u32 s3, s3, 0
	v_mov_b32_e32 v7, s14
	s_add_u32 s6, s6, 8
	v_mov_b32_e32 v8, s15
	s_addc_u32 s7, s7, 0
	v_cmp_ge_u64_e32 vcc, s[22:23], v[7:8]
	s_add_u32 s20, s20, 8
	v_add3_u32 v2, v10, v2, v4
	s_addc_u32 s21, s21, 0
	s_cbranch_vccnz .LBB0_9
; %bb.7:                                ;   in Loop: Header=BB0_2 Depth=1
	v_mov_b32_e32 v8, v6
	v_mov_b32_e32 v7, v5
	s_branch .LBB0_2
.LBB0_8:
	v_mov_b32_e32 v1, v53
	v_mov_b32_e32 v5, v7
	;; [unrolled: 1-line block ×4, first 2 shown]
.LBB0_9:
	s_load_dwordx2 s[0:1], s[4:5], 0x28
	s_lshl_b64 s[6:7], s[14:15], 3
	s_add_u32 s2, s18, s6
	s_addc_u32 s3, s19, s7
                                        ; implicit-def: $sgpr14
                                        ; implicit-def: $vgpr3
	s_waitcnt lgkmcnt(0)
	v_cmp_gt_u64_e32 vcc, s[0:1], v[5:6]
	v_cmp_le_u64_e64 s[0:1], s[0:1], v[5:6]
	s_and_saveexec_b64 s[4:5], s[0:1]
	s_xor_b64 s[0:1], exec, s[4:5]
; %bb.10:
	s_mov_b32 s4, 0x13b13b14
	v_mul_hi_u32 v3, v0, s4
	s_mov_b32 s14, 0
                                        ; implicit-def: $vgpr53_vgpr54
	v_mul_u32_u24_e32 v3, 13, v3
	v_sub_u32_e32 v3, v0, v3
                                        ; implicit-def: $vgpr0
; %bb.11:
	s_or_saveexec_b64 s[4:5], s[0:1]
	s_load_dwordx2 s[2:3], s[2:3], 0x0
	v_mov_b32_e32 v8, s14
	v_mov_b32_e32 v7, s14
                                        ; implicit-def: $vgpr48
                                        ; implicit-def: $vgpr57
                                        ; implicit-def: $vgpr52
                                        ; implicit-def: $vgpr46
                                        ; implicit-def: $vgpr42
                                        ; implicit-def: $vgpr38
                                        ; implicit-def: $vgpr34
                                        ; implicit-def: $vgpr36
                                        ; implicit-def: $vgpr40
                                        ; implicit-def: $vgpr44
                                        ; implicit-def: $vgpr55
                                        ; implicit-def: $vgpr22
                                        ; implicit-def: $vgpr24
                                        ; implicit-def: $vgpr26
                                        ; implicit-def: $vgpr30
                                        ; implicit-def: $vgpr32
                                        ; implicit-def: $vgpr28
                                        ; implicit-def: $vgpr10
                                        ; implicit-def: $vgpr12
                                        ; implicit-def: $vgpr14
                                        ; implicit-def: $vgpr16
                                        ; implicit-def: $vgpr18
                                        ; implicit-def: $vgpr20
                                        ; implicit-def: $vgpr59
                                        ; implicit-def: $vgpr50
	s_xor_b64 exec, exec, s[4:5]
	s_cbranch_execz .LBB0_15
; %bb.12:
	s_add_u32 s0, s16, s6
	s_addc_u32 s1, s17, s7
	s_load_dwordx2 s[0:1], s[0:1], 0x0
	s_mov_b32 s6, 0x13b13b14
	v_mul_hi_u32 v3, v0, s6
                                        ; implicit-def: $vgpr19
                                        ; implicit-def: $vgpr17
                                        ; implicit-def: $vgpr15
                                        ; implicit-def: $vgpr13
                                        ; implicit-def: $vgpr11
                                        ; implicit-def: $vgpr27
                                        ; implicit-def: $vgpr31
                                        ; implicit-def: $vgpr29
                                        ; implicit-def: $vgpr25
                                        ; implicit-def: $vgpr23
                                        ; implicit-def: $vgpr21
	s_waitcnt lgkmcnt(0)
	v_mul_lo_u32 v4, s1, v5
	v_mul_lo_u32 v9, s0, v6
	v_mad_u64_u32 v[7:8], s[0:1], s0, v5, 0
	v_mul_u32_u24_e32 v3, 13, v3
	v_sub_u32_e32 v3, v0, v3
	v_add3_u32 v8, v8, v9, v4
	v_lshlrev_b64 v[7:8], 3, v[7:8]
	v_mov_b32_e32 v0, s9
	v_add_co_u32_e64 v4, s[0:1], s8, v7
	v_addc_co_u32_e64 v0, s[0:1], v0, v8, s[0:1]
	v_lshlrev_b64 v[7:8], 3, v[53:54]
                                        ; implicit-def: $vgpr9
	v_add_co_u32_e64 v60, s[0:1], v4, v7
	v_addc_co_u32_e64 v61, s[0:1], v0, v8, s[0:1]
	v_lshlrev_b32_e32 v0, 3, v3
	v_add_co_u32_e64 v7, s[0:1], v60, v0
	v_addc_co_u32_e64 v8, s[0:1], 0, v61, s[0:1]
	global_load_dwordx2 v[47:48], v[7:8], off
	global_load_dwordx2 v[56:57], v[7:8], off offset:112
	global_load_dwordx2 v[51:52], v[7:8], off offset:224
	;; [unrolled: 1-line block ×12, first 2 shown]
	v_cmp_eq_u32_e64 s[0:1], 0, v3
	v_mov_b32_e32 v7, 0
	v_mov_b32_e32 v8, 0
	s_and_saveexec_b64 s[6:7], s[0:1]
	s_cbranch_execz .LBB0_14
; %bb.13:
	global_load_dwordx2 v[7:8], v[60:61], off offset:104
	global_load_dwordx2 v[21:22], v[60:61], off offset:216
	global_load_dwordx2 v[23:24], v[60:61], off offset:328
	global_load_dwordx2 v[25:26], v[60:61], off offset:440
	global_load_dwordx2 v[29:30], v[60:61], off offset:552
	global_load_dwordx2 v[31:32], v[60:61], off offset:664
	global_load_dwordx2 v[27:28], v[60:61], off offset:776
	global_load_dwordx2 v[19:20], v[60:61], off offset:888
	global_load_dwordx2 v[17:18], v[60:61], off offset:1000
	global_load_dwordx2 v[15:16], v[60:61], off offset:1112
	global_load_dwordx2 v[13:14], v[60:61], off offset:1224
	global_load_dwordx2 v[11:12], v[60:61], off offset:1336
	global_load_dwordx2 v[9:10], v[60:61], off offset:1448
	v_mov_b32_e32 v3, 0
.LBB0_14:
	s_or_b64 exec, exec, s[6:7]
.LBB0_15:
	s_or_b64 exec, exec, s[4:5]
	s_waitcnt vmcnt(11)
	v_add_f32_e32 v53, v48, v57
	v_add_f32_e32 v4, v47, v56
	s_waitcnt vmcnt(10)
	v_add_f32_e32 v53, v53, v52
	v_add_f32_e32 v4, v4, v51
	;; [unrolled: 3-line block ×12, first 2 shown]
	v_sub_f32_e32 v57, v57, v59
	v_add_f32_e32 v60, v58, v4
	v_add_f32_e32 v4, v58, v56
	v_sub_f32_e32 v56, v56, v58
	v_mul_f32_e32 v58, 0xbeedf032, v57
	v_mul_f32_e32 v64, 0xbf52af12, v57
	;; [unrolled: 1-line block ×6, first 2 shown]
	v_and_b32_e32 v0, 3, v62
	s_mov_b32 s6, 0x3f62ad3f
	v_mov_b32_e32 v59, v58
	v_mul_f32_e32 v62, 0xbeedf032, v56
	s_mov_b32 s7, 0x3f116cb1
	v_mov_b32_e32 v65, v64
	v_mul_f32_e32 v66, 0xbf52af12, v56
	;; [unrolled: 3-line block ×6, first 2 shown]
	v_fmac_f32_e32 v59, 0x3f62ad3f, v4
	v_fma_f32 v63, v53, s6, -v62
	v_fma_f32 v58, v4, s6, -v58
	v_fmac_f32_e32 v62, 0x3f62ad3f, v53
	v_fmac_f32_e32 v65, 0x3f116cb1, v4
	v_fma_f32 v67, v53, s7, -v66
	v_fma_f32 v64, v4, s7, -v64
	v_fmac_f32_e32 v66, 0x3f116cb1, v53
	;; [unrolled: 4-line block ×6, first 2 shown]
	v_add_f32_e32 v53, v52, v55
	v_sub_f32_e32 v52, v52, v55
	v_add_f32_e32 v59, v59, v47
	v_add_f32_e32 v63, v63, v48
	;; [unrolled: 1-line block ×25, first 2 shown]
	v_sub_f32_e32 v51, v51, v54
	v_mul_f32_e32 v54, 0xbf52af12, v52
	v_mov_b32_e32 v55, v54
	v_fma_f32 v54, v48, s7, -v54
	v_fmac_f32_e32 v55, 0x3f116cb1, v48
	v_mul_f32_e32 v56, 0xbf52af12, v51
	v_add_f32_e32 v54, v54, v58
	v_mul_f32_e32 v58, 0xbf6f5d39, v52
	v_add_f32_e32 v55, v55, v59
	v_fma_f32 v57, v53, s7, -v56
	v_fmac_f32_e32 v56, 0x3f116cb1, v53
	v_mov_b32_e32 v59, v58
	v_fma_f32 v58, v48, s9, -v58
	v_add_f32_e32 v56, v56, v62
	v_fmac_f32_e32 v59, 0xbeb58ec6, v48
	v_mul_f32_e32 v62, 0xbf6f5d39, v51
	v_add_f32_e32 v58, v58, v64
	v_mul_f32_e32 v64, 0xbe750f2a, v52
	v_add_f32_e32 v57, v57, v63
	v_add_f32_e32 v59, v59, v65
	v_fma_f32 v63, v53, s9, -v62
	v_fmac_f32_e32 v62, 0xbeb58ec6, v53
	v_mov_b32_e32 v65, v64
	v_fma_f32 v64, v48, s15, -v64
	v_add_f32_e32 v62, v62, v66
	v_fmac_f32_e32 v65, 0xbf788fa5, v48
	v_mul_f32_e32 v66, 0xbe750f2a, v51
	v_add_f32_e32 v64, v64, v68
	v_mul_f32_e32 v68, 0x3f29c268, v52
	v_add_f32_e32 v63, v63, v67
	;; [unrolled: 11-line block ×3, first 2 shown]
	v_add_f32_e32 v69, v69, v73
	v_fma_f32 v71, v53, s14, -v70
	v_fmac_f32_e32 v70, 0xbf3f9e67, v53
	v_mov_b32_e32 v73, v72
	v_add_f32_e32 v70, v70, v74
	v_fmac_f32_e32 v73, 0x3df6dbef, v48
	v_mul_f32_e32 v74, 0x3f7e222b, v51
	v_fma_f32 v72, v48, s8, -v72
	v_mul_f32_e32 v52, 0x3eedf032, v52
	v_mul_f32_e32 v51, 0x3eedf032, v51
	v_add_f32_e32 v73, v73, v77
	v_add_f32_e32 v72, v72, v76
	v_mov_b32_e32 v76, v52
	v_fma_f32 v77, v53, s6, -v51
	v_fmac_f32_e32 v51, 0x3f62ad3f, v53
	v_fmac_f32_e32 v76, 0x3f62ad3f, v48
	v_fma_f32 v48, v48, s6, -v52
	v_add_f32_e32 v47, v51, v47
	v_add_f32_e32 v51, v50, v46
	v_sub_f32_e32 v46, v46, v50
	v_add_f32_e32 v4, v48, v4
	v_add_f32_e32 v48, v49, v45
	v_sub_f32_e32 v45, v45, v49
	v_mul_f32_e32 v49, 0xbf7e222b, v46
	v_mov_b32_e32 v50, v49
	v_fma_f32 v49, v48, s8, -v49
	v_fmac_f32_e32 v50, 0x3df6dbef, v48
	v_mul_f32_e32 v52, 0xbf7e222b, v45
	v_add_f32_e32 v49, v54, v49
	v_mul_f32_e32 v54, 0xbe750f2a, v46
	v_add_f32_e32 v71, v71, v75
	v_fma_f32 v75, v53, s8, -v74
	v_fmac_f32_e32 v74, 0x3df6dbef, v53
	v_add_f32_e32 v50, v55, v50
	v_fma_f32 v53, v51, s8, -v52
	v_fmac_f32_e32 v52, 0x3df6dbef, v51
	v_mov_b32_e32 v55, v54
	v_fma_f32 v54, v48, s15, -v54
	v_add_f32_e32 v52, v56, v52
	v_fmac_f32_e32 v55, 0xbf788fa5, v48
	v_mul_f32_e32 v56, 0xbe750f2a, v45
	v_add_f32_e32 v54, v58, v54
	v_mul_f32_e32 v58, 0x3f6f5d39, v46
	v_add_f32_e32 v53, v57, v53
	v_add_f32_e32 v55, v59, v55
	v_fma_f32 v57, v51, s15, -v56
	v_fmac_f32_e32 v56, 0xbf788fa5, v51
	v_mov_b32_e32 v59, v58
	v_fma_f32 v58, v48, s9, -v58
	v_add_f32_e32 v56, v62, v56
	v_fmac_f32_e32 v59, 0xbeb58ec6, v48
	v_mul_f32_e32 v62, 0x3f6f5d39, v45
	v_add_f32_e32 v58, v64, v58
	v_mul_f32_e32 v64, 0x3eedf032, v46
	v_add_f32_e32 v57, v63, v57
	;; [unrolled: 11-line block ×3, first 2 shown]
	v_add_f32_e32 v65, v69, v65
	v_fma_f32 v67, v51, s6, -v66
	v_fmac_f32_e32 v66, 0x3f62ad3f, v51
	v_mov_b32_e32 v69, v68
	v_add_f32_e32 v66, v70, v66
	v_fmac_f32_e32 v69, 0x3f116cb1, v48
	v_mul_f32_e32 v70, 0xbf52af12, v45
	v_mul_f32_e32 v45, 0xbf29c268, v45
	v_add_f32_e32 v69, v73, v69
	v_fma_f32 v68, v48, s7, -v68
	v_mul_f32_e32 v46, 0xbf29c268, v46
	v_fma_f32 v73, v51, s14, -v45
	v_fmac_f32_e32 v45, 0xbf3f9e67, v51
	v_add_f32_e32 v68, v72, v68
	v_mov_b32_e32 v72, v46
	v_fma_f32 v46, v48, s14, -v46
	v_add_f32_e32 v45, v47, v45
	v_add_f32_e32 v47, v42, v44
	v_sub_f32_e32 v42, v42, v44
	v_add_f32_e32 v4, v4, v46
	v_add_f32_e32 v46, v41, v43
	v_sub_f32_e32 v41, v41, v43
	v_mul_f32_e32 v43, 0xbf6f5d39, v42
	v_mov_b32_e32 v44, v43
	v_fma_f32 v43, v46, s9, -v43
	v_fmac_f32_e32 v72, 0xbf3f9e67, v48
	v_fmac_f32_e32 v44, 0xbeb58ec6, v46
	v_mul_f32_e32 v48, 0xbf6f5d39, v41
	v_add_f32_e32 v43, v43, v49
	v_mul_f32_e32 v49, 0x3f29c268, v42
	v_add_f32_e32 v67, v71, v67
	v_fma_f32 v71, v51, s7, -v70
	v_fmac_f32_e32 v70, 0x3f116cb1, v51
	v_add_f32_e32 v44, v44, v50
	v_fma_f32 v50, v47, s9, -v48
	v_fmac_f32_e32 v48, 0xbeb58ec6, v47
	v_mov_b32_e32 v51, v49
	v_fma_f32 v49, v46, s14, -v49
	v_add_f32_e32 v48, v48, v52
	v_fmac_f32_e32 v51, 0xbf3f9e67, v46
	v_mul_f32_e32 v52, 0x3f29c268, v41
	v_add_f32_e32 v49, v49, v54
	v_mul_f32_e32 v54, 0x3eedf032, v42
	v_add_f32_e32 v50, v50, v53
	v_add_f32_e32 v51, v51, v55
	v_fma_f32 v53, v47, s14, -v52
	v_fmac_f32_e32 v52, 0xbf3f9e67, v47
	v_mov_b32_e32 v55, v54
	v_fma_f32 v54, v46, s6, -v54
	v_add_f32_e32 v52, v52, v56
	v_fmac_f32_e32 v55, 0x3f62ad3f, v46
	v_mul_f32_e32 v56, 0x3eedf032, v41
	v_add_f32_e32 v54, v54, v58
	v_mul_f32_e32 v58, 0xbf7e222b, v42
	v_add_f32_e32 v53, v53, v57
	;; [unrolled: 11-line block ×3, first 2 shown]
	v_add_f32_e32 v59, v59, v65
	v_fma_f32 v63, v47, s8, -v62
	v_fmac_f32_e32 v62, 0x3df6dbef, v47
	v_mov_b32_e32 v65, v64
	v_add_f32_e32 v62, v62, v66
	v_fmac_f32_e32 v65, 0xbf788fa5, v46
	v_mul_f32_e32 v66, 0x3e750f2a, v41
	v_mul_f32_e32 v41, 0x3f52af12, v41
	v_add_f32_e32 v65, v65, v69
	v_fma_f32 v64, v46, s15, -v64
	v_mul_f32_e32 v42, 0x3f52af12, v42
	v_fma_f32 v69, v47, s7, -v41
	v_fmac_f32_e32 v41, 0x3f116cb1, v47
	v_add_f32_e32 v64, v64, v68
	v_mov_b32_e32 v68, v42
	v_fma_f32 v42, v46, s7, -v42
	v_add_f32_e32 v41, v41, v45
	v_add_f32_e32 v45, v38, v40
	v_sub_f32_e32 v38, v38, v40
	v_add_f32_e32 v4, v42, v4
	v_add_f32_e32 v42, v37, v39
	v_sub_f32_e32 v37, v37, v39
	v_mul_f32_e32 v39, 0xbf29c268, v38
	v_mov_b32_e32 v40, v39
	v_fmac_f32_e32 v40, 0xbf3f9e67, v42
	v_add_f32_e32 v40, v40, v44
	v_mul_f32_e32 v44, 0xbf29c268, v37
	v_fmac_f32_e32 v68, 0x3f116cb1, v46
	v_fma_f32 v46, v45, s14, -v44
	v_fma_f32 v39, v42, s14, -v39
	v_fmac_f32_e32 v44, 0xbf3f9e67, v45
	v_add_f32_e32 v39, v39, v43
	v_add_f32_e32 v43, v44, v48
	v_mul_f32_e32 v44, 0x3f7e222b, v38
	v_add_f32_e32 v63, v63, v67
	v_fma_f32 v67, v47, s15, -v66
	v_fmac_f32_e32 v66, 0xbf788fa5, v47
	v_mov_b32_e32 v47, v44
	v_fma_f32 v44, v42, s8, -v44
	v_fmac_f32_e32 v47, 0x3df6dbef, v42
	v_mul_f32_e32 v48, 0x3f7e222b, v37
	v_add_f32_e32 v44, v44, v49
	v_mul_f32_e32 v49, 0xbf52af12, v38
	v_add_f32_e32 v46, v46, v50
	v_add_f32_e32 v47, v47, v51
	v_fma_f32 v50, v45, s8, -v48
	v_fmac_f32_e32 v48, 0x3df6dbef, v45
	v_mov_b32_e32 v51, v49
	v_fma_f32 v49, v42, s7, -v49
	v_add_f32_e32 v48, v48, v52
	v_fmac_f32_e32 v51, 0x3f116cb1, v42
	v_mul_f32_e32 v52, 0xbf52af12, v37
	v_add_f32_e32 v49, v49, v54
	v_mul_f32_e32 v54, 0x3e750f2a, v38
	v_add_f32_e32 v50, v50, v53
	v_add_f32_e32 v51, v51, v55
	v_fma_f32 v53, v45, s7, -v52
	v_fmac_f32_e32 v52, 0x3f116cb1, v45
	v_mov_b32_e32 v55, v54
	v_fma_f32 v54, v42, s15, -v54
	v_add_f32_e32 v52, v52, v56
	v_fmac_f32_e32 v55, 0xbf788fa5, v42
	v_mul_f32_e32 v56, 0x3e750f2a, v37
	v_add_f32_e32 v54, v54, v58
	v_mul_f32_e32 v58, 0x3eedf032, v38
	v_add_f32_e32 v77, v77, v81
	v_add_f32_e32 v53, v53, v57
	;; [unrolled: 1-line block ×3, first 2 shown]
	v_fma_f32 v57, v45, s15, -v56
	v_fmac_f32_e32 v56, 0xbf788fa5, v45
	v_mov_b32_e32 v59, v58
	v_add_f32_e32 v74, v74, v78
	v_add_f32_e32 v76, v76, v80
	;; [unrolled: 1-line block ×4, first 2 shown]
	v_fmac_f32_e32 v59, 0x3f62ad3f, v42
	v_mul_f32_e32 v62, 0x3eedf032, v37
	v_fma_f32 v58, v42, s6, -v58
	v_mul_f32_e32 v38, 0xbf6f5d39, v38
	v_mul_f32_e32 v37, 0xbf6f5d39, v37
	v_add_f32_e32 v70, v74, v70
	v_add_f32_e32 v72, v76, v72
	;; [unrolled: 1-line block ×5, first 2 shown]
	v_mov_b32_e32 v64, v38
	v_fma_f32 v65, v45, s9, -v37
	v_add_f32_e32 v66, v66, v70
	v_add_f32_e32 v68, v68, v72
	;; [unrolled: 1-line block ×3, first 2 shown]
	v_fma_f32 v63, v45, s6, -v62
	v_fmac_f32_e32 v62, 0x3f62ad3f, v45
	v_fmac_f32_e32 v64, 0xbeb58ec6, v42
	v_add_f32_e32 v65, v65, v69
	v_sub_f32_e32 v69, v34, v36
	v_add_f32_e32 v62, v62, v66
	v_add_f32_e32 v64, v64, v68
	;; [unrolled: 1-line block ×3, first 2 shown]
	v_sub_f32_e32 v68, v33, v35
	v_mul_f32_e32 v35, 0xbe750f2a, v69
	v_mov_b32_e32 v33, v35
	v_add_f32_e32 v75, v75, v79
	v_fmac_f32_e32 v33, 0xbf788fa5, v66
	v_add_f32_e32 v71, v75, v71
	v_fma_f32 v38, v42, s9, -v38
	v_add_f32_e32 v33, v33, v40
	v_mul_f32_e32 v40, 0x3eedf032, v69
	v_add_f32_e32 v67, v67, v71
	v_add_f32_e32 v4, v38, v4
	v_fmac_f32_e32 v37, 0xbeb58ec6, v45
	v_mov_b32_e32 v38, v40
	v_fma_f32 v40, v66, s6, -v40
	v_add_f32_e32 v63, v63, v67
	v_add_f32_e32 v37, v37, v41
	;; [unrolled: 1-line block ×3, first 2 shown]
	v_fma_f32 v35, v66, s15, -v35
	v_mul_f32_e32 v41, 0x3eedf032, v68
	v_add_f32_e32 v40, v40, v44
	v_mul_f32_e32 v44, 0xbf29c268, v69
	v_mul_f32_e32 v36, 0xbe750f2a, v68
	v_add_f32_e32 v35, v35, v39
	v_fma_f32 v39, v67, s6, -v41
	v_fmac_f32_e32 v41, 0x3f62ad3f, v67
	v_mov_b32_e32 v42, v44
	v_fma_f32 v44, v66, s14, -v44
	v_fma_f32 v34, v67, s15, -v36
	v_fmac_f32_e32 v38, 0x3f62ad3f, v66
	v_add_f32_e32 v41, v41, v48
	v_add_f32_e32 v44, v44, v49
	v_mul_f32_e32 v48, 0x3f52af12, v69
	v_mul_f32_e32 v49, 0x3f52af12, v68
	v_add_f32_e32 v34, v34, v46
	v_fmac_f32_e32 v36, 0xbf788fa5, v67
	v_add_f32_e32 v38, v38, v47
	v_mul_f32_e32 v45, 0xbf29c268, v68
	v_mov_b32_e32 v46, v48
	v_fma_f32 v47, v67, s7, -v49
	v_fmac_f32_e32 v49, 0x3f116cb1, v67
	v_add_f32_e32 v36, v36, v43
	v_fma_f32 v43, v67, s14, -v45
	v_fmac_f32_e32 v45, 0xbf3f9e67, v67
	v_fmac_f32_e32 v46, 0x3f116cb1, v66
	v_add_f32_e32 v47, v47, v57
	v_fma_f32 v48, v66, s7, -v48
	v_add_f32_e32 v49, v49, v56
	v_mul_f32_e32 v56, 0x3f7e222b, v69
	v_mul_f32_e32 v57, 0x3f7e222b, v68
	v_mul_u32_u24_e32 v0, 0xb6, v0
	v_add_f32_e32 v45, v45, v52
	v_add_f32_e32 v46, v46, v55
	;; [unrolled: 1-line block ×3, first 2 shown]
	v_mul_f32_e32 v52, 0xbf6f5d39, v69
	v_mov_b32_e32 v54, v56
	v_fma_f32 v55, v67, s8, -v57
	v_fma_f32 v56, v66, s8, -v56
	v_fmac_f32_e32 v57, 0x3df6dbef, v67
	v_add_f32_e32 v39, v39, v50
	v_fmac_f32_e32 v42, 0xbf3f9e67, v66
	v_add_f32_e32 v43, v43, v53
	v_mov_b32_e32 v50, v52
	v_mul_f32_e32 v53, 0xbf6f5d39, v68
	v_add_f32_e32 v56, v56, v4
	v_add_f32_e32 v57, v57, v37
	v_mul_u32_u24_e32 v4, 0x68, v3
	v_lshlrev_b32_e32 v37, 3, v0
	v_add_f32_e32 v42, v42, v51
	v_fmac_f32_e32 v50, 0xbeb58ec6, v66
	v_fma_f32 v51, v67, s9, -v53
	v_fma_f32 v52, v66, s9, -v52
	v_fmac_f32_e32 v53, 0xbeb58ec6, v67
	v_fmac_f32_e32 v54, 0x3df6dbef, v66
	v_add3_u32 v4, 0, v4, v37
	v_cmp_eq_u32_e64 s[0:1], 0, v3
	v_add_f32_e32 v50, v50, v59
	v_add_f32_e32 v51, v51, v63
	;; [unrolled: 1-line block ×6, first 2 shown]
	ds_write2_b64 v4, v[60:61], v[33:34] offset1:1
	ds_write2_b64 v4, v[38:39], v[42:43] offset0:2 offset1:3
	ds_write2_b64 v4, v[46:47], v[50:51] offset0:4 offset1:5
	;; [unrolled: 1-line block ×5, first 2 shown]
	ds_write_b64 v4, v[35:36] offset:96
	s_and_saveexec_b64 s[4:5], s[0:1]
	s_cbranch_execz .LBB0_17
; %bb.16:
	v_sub_f32_e32 v49, v21, v9
	v_add_f32_e32 v4, v22, v10
	v_mul_f32_e32 v50, 0xbe750f2a, v49
	v_sub_f32_e32 v51, v23, v11
	v_fma_f32 v33, v4, s15, -v50
	v_add_f32_e32 v38, v24, v12
	v_mul_f32_e32 v52, 0x3eedf032, v51
	v_sub_f32_e32 v53, v25, v13
	v_add_f32_e32 v33, v8, v33
	v_fma_f32 v34, v38, s6, -v52
	v_add_f32_e32 v39, v26, v14
	v_mul_f32_e32 v54, 0xbf29c268, v53
	v_sub_f32_e32 v55, v29, v15
	v_add_f32_e32 v33, v33, v34
	;; [unrolled: 5-line block ×5, first 2 shown]
	v_fma_f32 v34, v42, s8, -v60
	v_mul_f32_e32 v62, 0xbe750f2a, v61
	v_sub_f32_e32 v63, v24, v12
	v_add_f32_e32 v34, v33, v34
	v_add_f32_e32 v43, v21, v9
	v_mov_b32_e32 v33, v62
	v_mul_f32_e32 v64, 0x3eedf032, v63
	v_fmac_f32_e32 v33, 0xbf788fa5, v43
	v_add_f32_e32 v44, v23, v11
	v_mov_b32_e32 v35, v64
	v_sub_f32_e32 v65, v26, v14
	v_add_f32_e32 v33, v7, v33
	v_fmac_f32_e32 v35, 0x3f62ad3f, v44
	v_mul_f32_e32 v66, 0xbf29c268, v65
	v_add_f32_e32 v33, v33, v35
	v_add_f32_e32 v45, v25, v13
	v_mov_b32_e32 v35, v66
	v_sub_f32_e32 v67, v30, v16
	v_fmac_f32_e32 v35, 0xbf3f9e67, v45
	v_mul_f32_e32 v68, 0x3f52af12, v67
	v_add_f32_e32 v33, v33, v35
	v_add_f32_e32 v46, v29, v15
	v_mov_b32_e32 v35, v68
	v_sub_f32_e32 v69, v32, v18
	;; [unrolled: 6-line block ×3, first 2 shown]
	v_fmac_f32_e32 v35, 0xbeb58ec6, v47
	v_mul_f32_e32 v72, 0x3f7e222b, v71
	v_add_f32_e32 v33, v33, v35
	v_add_f32_e32 v48, v27, v19
	v_mov_b32_e32 v35, v72
	v_fmac_f32_e32 v35, 0x3df6dbef, v48
	v_mul_f32_e32 v73, 0xbf29c268, v49
	v_add_f32_e32 v33, v33, v35
	v_fma_f32 v35, v4, s14, -v73
	v_mul_f32_e32 v74, 0x3f7e222b, v51
	v_add_f32_e32 v35, v8, v35
	v_fma_f32 v36, v38, s8, -v74
	;; [unrolled: 3-line block ×5, first 2 shown]
	v_mul_f32_e32 v78, 0xbf29c268, v61
	v_add_f32_e32 v35, v35, v36
	v_mov_b32_e32 v36, v78
	v_mul_f32_e32 v79, 0x3f7e222b, v63
	v_fmac_f32_e32 v36, 0xbf3f9e67, v43
	v_mov_b32_e32 v80, v79
	v_add_f32_e32 v36, v7, v36
	v_fmac_f32_e32 v80, 0x3df6dbef, v44
	v_add_f32_e32 v36, v36, v80
	v_mul_f32_e32 v80, 0xbf52af12, v65
	v_add_f32_e32 v21, v7, v21
	v_mov_b32_e32 v81, v80
	v_add_f32_e32 v22, v8, v22
	v_add_f32_e32 v21, v21, v23
	v_fmac_f32_e32 v81, 0x3f116cb1, v45
	v_add_f32_e32 v22, v22, v24
	v_add_f32_e32 v21, v21, v25
	;; [unrolled: 1-line block ×3, first 2 shown]
	v_mul_f32_e32 v81, 0x3e750f2a, v67
	v_add_f32_e32 v22, v22, v26
	v_add_f32_e32 v21, v21, v29
	v_mov_b32_e32 v82, v81
	v_add_f32_e32 v22, v22, v30
	v_add_f32_e32 v21, v21, v31
	v_mul_f32_e32 v23, 0xbf6f5d39, v49
	v_fmac_f32_e32 v82, 0xbf788fa5, v46
	v_add_f32_e32 v22, v22, v32
	v_fma_f32 v24, v4, s9, -v23
	v_add_f32_e32 v21, v21, v27
	v_mul_f32_e32 v25, 0x3f29c268, v51
	v_add_f32_e32 v36, v36, v82
	v_mul_f32_e32 v82, 0x3eedf032, v69
	v_add_f32_e32 v24, v8, v24
	v_add_f32_e32 v22, v22, v28
	v_fma_f32 v26, v38, s14, -v25
	v_add_f32_e32 v19, v21, v19
	v_mov_b32_e32 v83, v82
	v_add_f32_e32 v24, v24, v26
	v_mul_f32_e32 v26, 0x3eedf032, v53
	v_add_f32_e32 v20, v22, v20
	v_add_f32_e32 v17, v17, v19
	v_fmac_f32_e32 v83, 0x3f62ad3f, v47
	v_mul_f32_e32 v84, 0xbf6f5d39, v59
	v_fma_f32 v27, v39, s6, -v26
	v_add_f32_e32 v18, v18, v20
	v_mul_f32_e32 v28, 0xbf6f5d39, v61
	v_add_f32_e32 v15, v15, v17
	v_add_f32_e32 v83, v36, v83
	v_fma_f32 v36, v42, s9, -v84
	v_mul_f32_e32 v85, 0xbf6f5d39, v71
	v_add_f32_e32 v24, v24, v27
	v_mul_f32_e32 v27, 0xbf7e222b, v55
	v_mov_b32_e32 v19, v28
	v_add_f32_e32 v16, v16, v18
	v_mul_f32_e32 v29, 0x3f29c268, v63
	v_add_f32_e32 v13, v13, v15
	v_mul_f32_e32 v87, 0xbf7e222b, v49
	v_add_f32_e32 v36, v35, v36
	v_mov_b32_e32 v35, v85
	v_fma_f32 v21, v40, s8, -v27
	v_fmac_f32_e32 v19, 0xbeb58ec6, v43
	v_mov_b32_e32 v17, v29
	v_mul_f32_e32 v30, 0x3eedf032, v65
	v_add_f32_e32 v14, v14, v16
	v_add_f32_e32 v11, v11, v13
	v_fma_f32 v13, v4, s8, -v87
	v_mul_f32_e32 v88, 0xbe750f2a, v51
	v_fmac_f32_e32 v35, 0xbeb58ec6, v48
	v_add_f32_e32 v21, v24, v21
	v_mul_f32_e32 v24, 0x3e750f2a, v57
	v_add_f32_e32 v19, v7, v19
	v_fmac_f32_e32 v17, 0xbf3f9e67, v44
	v_mov_b32_e32 v18, v30
	v_mul_f32_e32 v31, 0xbf7e222b, v67
	v_add_f32_e32 v12, v12, v14
	v_add_f32_e32 v13, v8, v13
	v_fma_f32 v14, v38, s15, -v88
	v_mul_f32_e32 v89, 0x3f6f5d39, v53
	v_add_f32_e32 v35, v83, v35
	v_fma_f32 v22, v41, s15, -v24
	v_add_f32_e32 v17, v19, v17
	v_fmac_f32_e32 v18, 0x3f62ad3f, v45
	v_mov_b32_e32 v15, v31
	v_mul_f32_e32 v32, 0x3e750f2a, v69
	v_mul_f32_e32 v83, 0x3f52af12, v59
	v_add_f32_e32 v13, v13, v14
	v_fma_f32 v14, v39, s9, -v89
	v_mul_f32_e32 v90, 0x3eedf032, v55
	v_add_f32_e32 v21, v21, v22
	v_add_f32_e32 v17, v17, v18
	v_fmac_f32_e32 v15, 0x3df6dbef, v46
	v_mov_b32_e32 v16, v32
	v_add_f32_e32 v9, v9, v11
	v_fma_f32 v11, v42, s7, -v83
	v_mul_f32_e32 v86, 0x3f52af12, v71
	v_add_f32_e32 v13, v13, v14
	v_fma_f32 v14, v40, s6, -v90
	v_mul_f32_e32 v91, 0xbf52af12, v57
	v_add_f32_e32 v15, v17, v15
	v_fmac_f32_e32 v16, 0xbf788fa5, v47
	v_add_f32_e32 v10, v10, v12
	v_add_f32_e32 v12, v21, v11
	v_mov_b32_e32 v11, v86
	v_add_f32_e32 v13, v13, v14
	v_fma_f32 v14, v41, s7, -v91
	v_mul_f32_e32 v92, 0xbf7e222b, v61
	v_add_f32_e32 v15, v15, v16
	v_fmac_f32_e32 v11, 0x3f116cb1, v48
	v_add_f32_e32 v13, v13, v14
	v_mov_b32_e32 v14, v92
	v_mul_f32_e32 v93, 0xbe750f2a, v63
	v_add_f32_e32 v11, v15, v11
	v_fmac_f32_e32 v14, 0x3df6dbef, v43
	v_mov_b32_e32 v15, v93
	v_add_f32_e32 v14, v7, v14
	v_fmac_f32_e32 v15, 0xbf788fa5, v44
	v_mul_f32_e32 v94, 0x3f6f5d39, v65
	v_add_f32_e32 v14, v14, v15
	v_mov_b32_e32 v15, v94
	v_fmac_f32_e32 v15, 0xbeb58ec6, v45
	v_mul_f32_e32 v95, 0x3eedf032, v67
	v_add_f32_e32 v14, v14, v15
	v_mov_b32_e32 v15, v95
	;; [unrolled: 4-line block ×3, first 2 shown]
	v_fmac_f32_e32 v15, 0x3f116cb1, v47
	v_mul_f32_e32 v97, 0xbf29c268, v59
	v_add_f32_e32 v15, v14, v15
	v_fma_f32 v14, v42, s14, -v97
	v_mul_f32_e32 v98, 0xbf29c268, v71
	v_add_f32_e32 v14, v13, v14
	v_mov_b32_e32 v13, v98
	v_fmac_f32_e32 v13, 0xbf3f9e67, v48
	v_mul_f32_e32 v99, 0xbf52af12, v49
	v_add_f32_e32 v13, v15, v13
	v_fma_f32 v15, v4, s7, -v99
	v_mul_f32_e32 v100, 0xbf6f5d39, v51
	v_add_f32_e32 v15, v8, v15
	v_fma_f32 v16, v38, s9, -v100
	;; [unrolled: 3-line block ×5, first 2 shown]
	v_mul_f32_e32 v104, 0xbf52af12, v61
	v_add_f32_e32 v15, v15, v16
	v_mov_b32_e32 v16, v104
	v_mul_f32_e32 v105, 0xbf6f5d39, v63
	v_fmac_f32_e32 v16, 0x3f116cb1, v43
	v_mov_b32_e32 v17, v105
	v_add_f32_e32 v16, v7, v16
	v_fmac_f32_e32 v17, 0xbeb58ec6, v44
	v_mul_f32_e32 v106, 0xbe750f2a, v65
	v_add_f32_e32 v16, v16, v17
	v_mov_b32_e32 v17, v106
	v_fmac_f32_e32 v17, 0xbf788fa5, v45
	v_mul_f32_e32 v107, 0x3f29c268, v67
	v_add_f32_e32 v16, v16, v17
	v_mov_b32_e32 v17, v107
	;; [unrolled: 4-line block ×3, first 2 shown]
	v_fmac_f32_e32 v17, 0x3df6dbef, v47
	v_mul_f32_e32 v109, 0x3eedf032, v59
	v_fmac_f32_e32 v23, 0xbeb58ec6, v4
	v_add_f32_e32 v17, v16, v17
	v_fma_f32 v16, v42, s6, -v109
	v_mul_f32_e32 v110, 0x3eedf032, v71
	v_add_f32_e32 v23, v8, v23
	v_fmac_f32_e32 v25, 0xbf3f9e67, v38
	v_add_f32_e32 v16, v15, v16
	v_mov_b32_e32 v15, v110
	v_add_f32_e32 v23, v23, v25
	v_fmac_f32_e32 v26, 0x3f62ad3f, v39
	v_fmac_f32_e32 v15, 0x3f62ad3f, v48
	v_mul_f32_e32 v49, 0xbeedf032, v49
	v_add_f32_e32 v23, v23, v26
	v_fmac_f32_e32 v27, 0x3df6dbef, v40
	v_add_f32_e32 v15, v17, v15
	v_fma_f32 v17, v4, s6, -v49
	v_mul_f32_e32 v51, 0xbf52af12, v51
	v_add_f32_e32 v23, v23, v27
	v_fmac_f32_e32 v24, 0xbf788fa5, v41
	v_add_f32_e32 v17, v8, v17
	v_fma_f32 v18, v38, s7, -v51
	v_mul_f32_e32 v53, 0xbf7e222b, v53
	v_add_f32_e32 v23, v23, v24
	v_fma_f32 v24, v43, s9, -v28
	v_add_f32_e32 v17, v17, v18
	v_fma_f32 v18, v39, s8, -v53
	v_mul_f32_e32 v55, 0xbf6f5d39, v55
	v_add_f32_e32 v24, v7, v24
	v_fma_f32 v25, v44, s14, -v29
	;; [unrolled: 5-line block ×4, first 2 shown]
	v_add_f32_e32 v17, v17, v18
	v_mov_b32_e32 v18, v61
	v_mul_f32_e32 v63, 0xbf52af12, v63
	v_add_f32_e32 v24, v24, v25
	v_fma_f32 v25, v47, s15, -v32
	v_fmac_f32_e32 v83, 0x3f116cb1, v42
	v_fmac_f32_e32 v18, 0x3f62ad3f, v43
	v_mov_b32_e32 v19, v63
	v_add_f32_e32 v25, v24, v25
	v_add_f32_e32 v24, v23, v83
	v_fma_f32 v23, v48, s7, -v86
	v_fmac_f32_e32 v87, 0x3df6dbef, v4
	v_add_f32_e32 v18, v7, v18
	v_fmac_f32_e32 v19, 0x3f116cb1, v44
	v_mul_f32_e32 v65, 0xbf7e222b, v65
	v_add_f32_e32 v23, v25, v23
	v_add_f32_e32 v25, v8, v87
	v_fmac_f32_e32 v88, 0xbf788fa5, v38
	v_add_f32_e32 v18, v18, v19
	v_mov_b32_e32 v19, v65
	v_add_f32_e32 v25, v25, v88
	v_fmac_f32_e32 v89, 0xbeb58ec6, v39
	v_fmac_f32_e32 v19, 0x3df6dbef, v45
	v_mul_f32_e32 v67, 0xbf6f5d39, v67
	v_add_f32_e32 v25, v25, v89
	v_fmac_f32_e32 v90, 0x3f62ad3f, v40
	v_add_f32_e32 v18, v18, v19
	v_mov_b32_e32 v19, v67
	v_add_f32_e32 v25, v25, v90
	v_fmac_f32_e32 v91, 0x3f116cb1, v41
	v_fmac_f32_e32 v19, 0xbeb58ec6, v46
	v_mul_f32_e32 v69, 0xbf29c268, v69
	v_add_f32_e32 v25, v25, v91
	v_fmac_f32_e32 v97, 0xbf3f9e67, v42
	v_add_f32_e32 v18, v18, v19
	v_mov_b32_e32 v19, v69
	v_add_f32_e32 v26, v25, v97
	v_fma_f32 v25, v43, s8, -v92
	v_fmac_f32_e32 v19, 0xbf3f9e67, v47
	v_mul_f32_e32 v59, 0xbe750f2a, v59
	v_add_f32_e32 v25, v7, v25
	v_fma_f32 v27, v44, s15, -v93
	v_add_f32_e32 v19, v18, v19
	v_fma_f32 v18, v42, s15, -v59
	v_mul_f32_e32 v71, 0xbe750f2a, v71
	v_add_f32_e32 v25, v25, v27
	v_fma_f32 v27, v45, s9, -v94
	v_add_f32_e32 v18, v17, v18
	v_mov_b32_e32 v17, v71
	v_add_f32_e32 v25, v25, v27
	v_fma_f32 v27, v46, s6, -v95
	v_fmac_f32_e32 v17, 0xbf788fa5, v48
	v_fmac_f32_e32 v50, 0xbf788fa5, v4
	v_add_f32_e32 v25, v25, v27
	v_fma_f32 v27, v47, s7, -v96
	v_add_f32_e32 v17, v19, v17
	v_add_f32_e32 v19, v8, v50
	v_fmac_f32_e32 v52, 0x3f62ad3f, v38
	v_fma_f32 v20, v43, s15, -v62
	v_add_f32_e32 v25, v25, v27
	v_fma_f32 v27, v48, s14, -v98
	v_fmac_f32_e32 v99, 0x3f116cb1, v4
	v_fmac_f32_e32 v49, 0x3f62ad3f, v4
	v_add_f32_e32 v19, v19, v52
	v_fmac_f32_e32 v54, 0xbf3f9e67, v39
	v_add_f32_e32 v20, v7, v20
	v_fma_f32 v21, v44, s6, -v64
	v_fmac_f32_e32 v73, 0xbf3f9e67, v4
	v_add_f32_e32 v25, v25, v27
	v_add_f32_e32 v27, v8, v99
	v_fmac_f32_e32 v100, 0xbeb58ec6, v38
	v_add_f32_e32 v4, v8, v49
	v_fmac_f32_e32 v51, 0x3f116cb1, v38
	;; [unrolled: 2-line block ×3, first 2 shown]
	v_add_f32_e32 v20, v20, v21
	v_fma_f32 v21, v45, s14, -v66
	v_add_f32_e32 v27, v27, v100
	v_fmac_f32_e32 v101, 0xbf788fa5, v39
	v_add_f32_e32 v4, v4, v51
	v_fmac_f32_e32 v53, 0x3df6dbef, v39
	;; [unrolled: 2-line block ×3, first 2 shown]
	v_add_f32_e32 v20, v20, v21
	v_fma_f32 v21, v46, s7, -v68
	v_add_f32_e32 v27, v27, v101
	v_fmac_f32_e32 v102, 0xbf3f9e67, v40
	v_add_f32_e32 v4, v4, v53
	v_fmac_f32_e32 v55, 0xbeb58ec6, v40
	v_add_f32_e32 v19, v19, v58
	v_add_f32_e32 v20, v20, v21
	v_fma_f32 v21, v47, s9, -v70
	v_fmac_f32_e32 v60, 0x3df6dbef, v42
	v_add_f32_e32 v27, v27, v102
	v_fmac_f32_e32 v103, 0x3df6dbef, v41
	v_add_f32_e32 v4, v4, v55
	v_fmac_f32_e32 v57, 0xbf3f9e67, v41
	v_add_f32_e32 v21, v20, v21
	v_add_f32_e32 v20, v19, v60
	v_fma_f32 v19, v48, s8, -v72
	v_add_f32_e32 v27, v27, v103
	v_fmac_f32_e32 v109, 0x3f62ad3f, v42
	v_add_f32_e32 v4, v4, v57
	v_fmac_f32_e32 v59, 0xbf788fa5, v42
	v_add_f32_e32 v19, v21, v19
	v_add_f32_e32 v21, v8, v73
	v_fmac_f32_e32 v74, 0x3df6dbef, v38
	v_fma_f32 v22, v43, s14, -v78
	v_add_f32_e32 v28, v27, v109
	v_fma_f32 v27, v43, s7, -v104
	v_add_f32_e32 v8, v4, v59
	v_fma_f32 v4, v43, s6, -v61
	v_add_f32_e32 v21, v21, v74
	v_fmac_f32_e32 v75, 0x3f116cb1, v39
	v_add_f32_e32 v22, v7, v22
	v_fma_f32 v50, v44, s8, -v79
	v_add_f32_e32 v27, v7, v27
	v_fma_f32 v29, v44, s9, -v105
	v_add_f32_e32 v4, v7, v4
	v_fma_f32 v7, v44, s7, -v63
	v_add_f32_e32 v21, v21, v75
	v_fmac_f32_e32 v76, 0xbf788fa5, v40
	v_add_f32_e32 v22, v22, v50
	;; [unrolled: 8-line block ×3, first 2 shown]
	v_fma_f32 v50, v46, s15, -v81
	v_add_f32_e32 v27, v27, v29
	v_fma_f32 v29, v46, s14, -v107
	v_add_f32_e32 v4, v4, v7
	;; [unrolled: 2-line block ×3, first 2 shown]
	v_add_f32_e32 v22, v22, v50
	v_fma_f32 v50, v47, s6, -v82
	v_fmac_f32_e32 v84, 0xbeb58ec6, v42
	v_add_f32_e32 v27, v27, v29
	v_fma_f32 v29, v47, s8, -v108
	v_add_f32_e32 v4, v4, v7
	v_fma_f32 v7, v47, s14, -v69
	v_add_f32_e32 v50, v22, v50
	v_add_f32_e32 v22, v21, v84
	v_fma_f32 v21, v48, s9, -v85
	v_add_f32_e32 v27, v27, v29
	v_fma_f32 v29, v48, s6, -v110
	;; [unrolled: 2-line block ×3, first 2 shown]
	v_lshl_add_u32 v0, v0, 3, 0
	v_add_f32_e32 v21, v50, v21
	v_add_f32_e32 v27, v27, v29
	v_add_f32_e32 v7, v4, v7
	ds_write2_b64 v0, v[9:10], v[17:18] offset0:169 offset1:170
	ds_write2_b64 v0, v[15:16], v[13:14] offset0:171 offset1:172
	ds_write2_b64 v0, v[11:12], v[35:36] offset0:173 offset1:174
	ds_write2_b64 v0, v[33:34], v[19:20] offset0:175 offset1:176
	ds_write2_b64 v0, v[21:22], v[23:24] offset0:177 offset1:178
	ds_write2_b64 v0, v[25:26], v[27:28] offset0:179 offset1:180
	ds_write_b64 v0, v[7:8] offset:1448
.LBB0_17:
	s_or_b64 exec, exec, s[4:5]
	v_mov_b32_e32 v4, 0
	v_lshlrev_b64 v[7:8], 3, v[3:4]
	v_mov_b32_e32 v0, s13
	v_add_co_u32_e64 v7, s[0:1], s12, v7
	v_addc_co_u32_e64 v8, s[0:1], v0, v8, s[0:1]
	v_add_u16_e32 v0, 26, v3
	s_movk_i32 s0, 0x4f
	v_mul_lo_u16_sdwa v9, v0, s0 dst_sel:DWORD dst_unused:UNUSED_PAD src0_sel:BYTE_0 src1_sel:DWORD
	v_lshrrev_b16_e32 v9, 10, v9
	v_mul_lo_u16_e32 v9, 13, v9
	v_sub_u16_e32 v0, v0, v9
	v_mov_b32_e32 v9, 3
	v_lshlrev_b32_sdwa v48, v9, v0 dst_sel:DWORD dst_unused:UNUSED_PAD src0_sel:DWORD src1_sel:BYTE_0
	v_add_u16_e32 v0, 39, v3
	v_mul_lo_u16_sdwa v10, v0, s0 dst_sel:DWORD dst_unused:UNUSED_PAD src0_sel:BYTE_0 src1_sel:DWORD
	v_lshrrev_b16_e32 v10, 10, v10
	v_mul_lo_u16_e32 v10, 13, v10
	v_sub_u16_e32 v0, v0, v10
	v_lshlrev_b32_sdwa v49, v9, v0 dst_sel:DWORD dst_unused:UNUSED_PAD src0_sel:DWORD src1_sel:BYTE_0
	v_add_u16_e32 v0, 52, v3
	v_mul_lo_u16_sdwa v10, v0, s0 dst_sel:DWORD dst_unused:UNUSED_PAD src0_sel:BYTE_0 src1_sel:DWORD
	v_lshrrev_b16_e32 v10, 10, v10
	v_mul_lo_u16_e32 v10, 13, v10
	v_sub_u16_e32 v0, v0, v10
	v_lshlrev_b32_sdwa v50, v9, v0 dst_sel:DWORD dst_unused:UNUSED_PAD src0_sel:DWORD src1_sel:BYTE_0
	v_add_u16_e32 v0, 0x41, v3
	s_waitcnt lgkmcnt(0)
	; wave barrier
	s_waitcnt lgkmcnt(0)
	global_load_dwordx2 v[32:33], v[7:8], off
	global_load_dwordx2 v[34:35], v48, s[12:13]
	global_load_dwordx2 v[38:39], v49, s[12:13]
	;; [unrolled: 1-line block ×3, first 2 shown]
	v_mul_lo_u16_sdwa v7, v0, s0 dst_sel:DWORD dst_unused:UNUSED_PAD src0_sel:BYTE_0 src1_sel:DWORD
	v_lshrrev_b16_e32 v7, 10, v7
	v_mul_lo_u16_e32 v7, 13, v7
	v_sub_u16_e32 v0, v0, v7
	v_lshlrev_b32_sdwa v51, v9, v0 dst_sel:DWORD dst_unused:UNUSED_PAD src0_sel:DWORD src1_sel:BYTE_0
	v_add_u16_e32 v0, 0x4e, v3
	v_mul_lo_u16_sdwa v7, v0, s0 dst_sel:DWORD dst_unused:UNUSED_PAD src0_sel:BYTE_0 src1_sel:DWORD
	v_lshrrev_b16_e32 v7, 10, v7
	v_mul_lo_u16_e32 v7, 13, v7
	v_sub_u16_e32 v0, v0, v7
	global_load_dwordx2 v[42:43], v51, s[12:13]
	v_lshlrev_b32_sdwa v52, v9, v0 dst_sel:DWORD dst_unused:UNUSED_PAD src0_sel:DWORD src1_sel:BYTE_0
	global_load_dwordx2 v[44:45], v52, s[12:13]
	v_add_u32_e32 v53, 0, v37
	v_lshlrev_b32_e32 v7, 3, v3
	v_add_u32_e32 v0, v53, v7
	v_add3_u32 v7, 0, v7, v37
	ds_read2_b64 v[8:11], v7 offset0:91 offset1:104
	ds_read2_b64 v[12:15], v7 offset0:13 offset1:26
	;; [unrolled: 1-line block ×6, first 2 shown]
	ds_read_b64 v[36:37], v0
	ds_read_b64 v[46:47], v7 offset:1352
	s_waitcnt lgkmcnt(0)
	; wave barrier
	s_waitcnt vmcnt(5) lgkmcnt(0)
	v_mul_f32_e32 v54, v33, v9
	v_mul_f32_e32 v55, v33, v8
	;; [unrolled: 1-line block ×4, first 2 shown]
	v_fmac_f32_e32 v54, v32, v8
	v_fma_f32 v9, v32, v9, -v55
	v_fmac_f32_e32 v56, v32, v10
	v_fma_f32 v32, v32, v11, -v33
	s_waitcnt vmcnt(4)
	v_mul_f32_e32 v33, v35, v17
	v_mul_f32_e32 v10, v35, v16
	s_waitcnt vmcnt(3)
	v_mul_f32_e32 v35, v39, v19
	v_mul_f32_e32 v11, v39, v18
	v_sub_f32_e32 v8, v36, v54
	v_fmac_f32_e32 v33, v34, v16
	v_fma_f32 v34, v34, v17, -v10
	v_sub_f32_e32 v9, v37, v9
	s_waitcnt vmcnt(2)
	v_mul_f32_e32 v39, v25, v41
	v_mul_f32_e32 v41, v24, v41
	v_fmac_f32_e32 v35, v38, v18
	v_fma_f32 v38, v38, v19, -v11
	v_fma_f32 v10, v36, 2.0, -v8
	v_fma_f32 v11, v37, 2.0, -v9
	v_sub_f32_e32 v16, v12, v56
	v_sub_f32_e32 v17, v13, v32
	;; [unrolled: 1-line block ×4, first 2 shown]
	s_waitcnt vmcnt(1)
	v_mul_f32_e32 v55, v27, v43
	v_mul_f32_e32 v43, v26, v43
	v_fmac_f32_e32 v39, v24, v40
	v_fma_f32 v40, v25, v40, -v41
	v_fma_f32 v12, v12, 2.0, -v16
	v_fma_f32 v13, v13, 2.0, -v17
	;; [unrolled: 1-line block ×4, first 2 shown]
	v_sub_f32_e32 v24, v20, v35
	v_sub_f32_e32 v25, v21, v38
	ds_write2_b64 v7, v[10:11], v[8:9] offset1:13
	ds_write2_b64 v7, v[12:13], v[16:17] offset0:26 offset1:39
	v_add_u32_e32 v8, v53, v48
	s_waitcnt vmcnt(0)
	v_mul_f32_e32 v57, v47, v45
	v_mul_f32_e32 v45, v46, v45
	v_fmac_f32_e32 v55, v26, v42
	v_fma_f32 v41, v27, v42, -v43
	v_fma_f32 v20, v20, 2.0, -v24
	v_fma_f32 v21, v21, 2.0, -v25
	v_sub_f32_e32 v26, v22, v39
	v_sub_f32_e32 v27, v23, v40
	ds_write2_b64 v8, v[14:15], v[18:19] offset0:52 offset1:65
	v_add_u32_e32 v8, v53, v49
	v_fmac_f32_e32 v57, v46, v44
	v_fma_f32 v42, v47, v44, -v45
	v_fma_f32 v22, v22, 2.0, -v26
	v_fma_f32 v23, v23, 2.0, -v27
	v_sub_f32_e32 v32, v28, v55
	v_sub_f32_e32 v33, v29, v41
	ds_write2_b64 v8, v[20:21], v[24:25] offset0:78 offset1:91
	v_add_u32_e32 v8, v53, v50
	v_fma_f32 v28, v28, 2.0, -v32
	v_fma_f32 v29, v29, 2.0, -v33
	v_sub_f32_e32 v34, v30, v57
	v_sub_f32_e32 v35, v31, v42
	ds_write2_b64 v8, v[22:23], v[26:27] offset0:104 offset1:117
	v_add_u32_e32 v8, v53, v51
	v_fma_f32 v30, v30, 2.0, -v34
	v_fma_f32 v31, v31, 2.0, -v35
	ds_write2_b64 v8, v[28:29], v[32:33] offset0:130 offset1:143
	v_add_u32_e32 v8, v53, v52
	ds_write2_b64 v8, v[30:31], v[34:35] offset0:156 offset1:169
	s_waitcnt lgkmcnt(0)
	; wave barrier
	s_waitcnt lgkmcnt(0)
	s_and_saveexec_b64 s[0:1], vcc
	s_cbranch_execz .LBB0_19
; %bb.18:
	v_add_u32_e32 v8, 13, v3
	v_mul_u32_u24_e32 v8, 6, v8
	v_lshlrev_b32_e32 v20, 3, v8
	global_load_dwordx4 v[8:11], v20, s[12:13] offset:104
	global_load_dwordx4 v[12:15], v20, s[12:13] offset:136
	;; [unrolled: 1-line block ×3, first 2 shown]
	v_mul_u32_u24_e32 v44, 6, v3
	ds_read2_b64 v[20:23], v7 offset0:39 offset1:52
	ds_read2_b64 v[24:27], v7 offset0:117 offset1:130
	;; [unrolled: 1-line block ×6, first 2 shown]
	ds_read_b64 v[56:57], v7 offset:1352
	ds_read_b64 v[58:59], v0
	v_lshlrev_b32_e32 v0, 3, v44
	global_load_dwordx4 v[44:47], v0, s[12:13] offset:136
	global_load_dwordx4 v[48:51], v0, s[12:13] offset:120
	global_load_dwordx4 v[52:55], v0, s[12:13] offset:104
	v_mul_lo_u32 v60, s3, v5
	v_mul_lo_u32 v61, s2, v6
	v_mad_u64_u32 v[5:6], s[0:1], s2, v5, 0
	s_mov_b32 s2, 0xbf3bfb3b
	s_mov_b32 s1, 0x3eae86e6
	v_add3_u32 v6, v6, v61, v60
	s_mov_b32 s3, 0x3f3bfb3b
	s_mov_b32 s0, 0xbf5ff5aa
	v_lshlrev_b64 v[5:6], 3, v[5:6]
	v_add_co_u32_e32 v5, vcc, s10, v5
	s_waitcnt vmcnt(5) lgkmcnt(7)
	v_mul_f32_e32 v0, v9, v21
	s_waitcnt vmcnt(4) lgkmcnt(1)
	v_mul_f32_e32 v7, v15, v57
	s_waitcnt vmcnt(3)
	v_mul_f32_e32 v60, v19, v25
	v_mul_f32_e32 v61, v17, v29
	;; [unrolled: 1-line block ×10, first 2 shown]
	v_fmac_f32_e32 v0, v8, v20
	v_fmac_f32_e32 v7, v14, v56
	;; [unrolled: 1-line block ×6, first 2 shown]
	v_fma_f32 v14, v14, v57, -v15
	v_fma_f32 v8, v8, v21, -v9
	;; [unrolled: 1-line block ×6, first 2 shown]
	v_sub_f32_e32 v13, v0, v7
	v_sub_f32_e32 v10, v60, v61
	;; [unrolled: 1-line block ×3, first 2 shown]
	v_add_f32_e32 v17, v8, v14
	v_add_f32_e32 v19, v11, v12
	v_add_f32_e32 v0, v0, v7
	v_add_f32_e32 v7, v60, v61
	v_add_f32_e32 v20, v62, v63
	v_add_f32_e32 v18, v15, v9
	v_sub_f32_e32 v14, v8, v14
	v_sub_f32_e32 v9, v15, v9
	;; [unrolled: 1-line block ×4, first 2 shown]
	v_add_f32_e32 v10, v10, v16
	v_add_f32_e32 v25, v17, v19
	v_sub_f32_e32 v29, v7, v20
	v_add_f32_e32 v32, v0, v20
	v_add_f32_e32 v37, v13, v10
	;; [unrolled: 1-line block ×3, first 2 shown]
	v_mul_f32_e32 v25, 0x3d64c772, v29
	v_add_f32_e32 v29, v7, v32
	v_sub_f32_e32 v28, v0, v7
	v_mul_f32_e32 v36, 0x3f08b237, v8
	v_add_f32_e32 v8, v10, v41
	v_mov_b32_e32 v41, v25
	v_add_f32_e32 v7, v29, v40
	v_sub_f32_e32 v21, v17, v18
	v_sub_f32_e32 v24, v18, v19
	v_mul_f32_e32 v18, 0x3f4a47b2, v28
	v_fmac_f32_e32 v41, 0x3f4a47b2, v28
	v_mov_b32_e32 v28, v7
	v_sub_f32_e32 v11, v11, v12
	v_mul_f32_e32 v24, 0x3d64c772, v24
	v_fmac_f32_e32 v28, 0xbf955555, v29
	v_sub_f32_e32 v12, v9, v11
	v_sub_f32_e32 v13, v16, v13
	;; [unrolled: 1-line block ×3, first 2 shown]
	v_mov_b32_e32 v32, v36
	v_mov_b32_e32 v57, v24
	v_add_f32_e32 v40, v41, v28
	v_mul_f32_e32 v41, 0x3f08b237, v12
	v_mul_f32_e32 v12, 0xbf5ff5aa, v13
	v_fma_f32 v16, v0, s2, -v18
	v_sub_f32_e32 v33, v14, v9
	v_mul_f32_e32 v56, 0x3f4a47b2, v21
	v_fmac_f32_e32 v32, 0xbeae86e6, v15
	v_fmac_f32_e32 v57, 0x3f4a47b2, v21
	v_mov_b32_e32 v21, v8
	v_add_f32_e32 v9, v9, v11
	v_fma_f32 v61, v15, s1, -v12
	v_sub_f32_e32 v15, v19, v17
	v_add_f32_e32 v19, v16, v28
	v_sub_f32_e32 v16, v11, v14
	v_fmac_f32_e32 v21, 0xbf955555, v10
	v_add_f32_e32 v60, v14, v9
	v_fma_f32 v12, v15, s2, -v56
	v_mul_f32_e32 v11, 0xbf5ff5aa, v16
	v_fma_f32 v14, v15, s3, -v24
	v_add_f32_e32 v29, v57, v21
	v_add_f32_e32 v17, v12, v21
	v_fma_f32 v20, v33, s1, -v11
	v_add_f32_e32 v15, v14, v21
	v_fma_f32 v18, v13, s0, -v36
	v_fma_f32 v0, v0, s3, -v25
	;; [unrolled: 1-line block ×3, first 2 shown]
	v_fmac_f32_e32 v32, 0xbee1c552, v37
	v_mov_b32_e32 v57, v41
	v_fmac_f32_e32 v61, 0xbee1c552, v37
	v_fmac_f32_e32 v20, 0xbee1c552, v60
	;; [unrolled: 1-line block ×3, first 2 shown]
	v_add_f32_e32 v0, v0, v28
	v_fmac_f32_e32 v21, 0xbee1c552, v60
	v_add_f32_e32 v10, v32, v29
	v_fmac_f32_e32 v57, 0xbeae86e6, v33
	v_add_f32_e32 v12, v61, v17
	v_sub_f32_e32 v11, v19, v20
	v_sub_f32_e32 v14, v15, v18
	v_add_f32_e32 v13, v21, v0
	v_add_f32_e32 v16, v18, v15
	v_sub_f32_e32 v15, v0, v21
	v_sub_f32_e32 v18, v17, v61
	v_add_f32_e32 v17, v20, v19
	v_sub_f32_e32 v20, v29, v32
	s_waitcnt vmcnt(0)
	v_mul_f32_e32 v0, v53, v43
	v_mul_f32_e32 v21, v47, v39
	;; [unrolled: 1-line block ×6, first 2 shown]
	v_fmac_f32_e32 v0, v52, v42
	v_fmac_f32_e32 v21, v46, v38
	v_fmac_f32_e32 v28, v50, v30
	v_fmac_f32_e32 v29, v48, v34
	v_fmac_f32_e32 v33, v54, v22
	v_fmac_f32_e32 v36, v44, v26
	v_fmac_f32_e32 v57, 0xbee1c552, v60
	v_sub_f32_e32 v25, v0, v21
	v_sub_f32_e32 v24, v28, v29
	;; [unrolled: 1-line block ×4, first 2 shown]
	v_add_f32_e32 v19, v57, v40
	v_sub_f32_e32 v32, v25, v24
	v_sub_f32_e32 v40, v24, v37
	v_add_f32_e32 v24, v24, v37
	v_add_f32_e32 v56, v25, v24
	v_mul_f32_e32 v24, v38, v47
	v_fma_f32 v38, v46, v39, -v24
	v_mul_f32_e32 v24, v53, v42
	v_fma_f32 v39, v52, v43, -v24
	v_mul_f32_e32 v24, v49, v34
	v_add_f32_e32 v0, v0, v21
	v_add_f32_e32 v21, v28, v29
	v_add_f32_e32 v33, v33, v36
	v_fma_f32 v34, v48, v35, -v24
	v_mul_f32_e32 v24, v51, v30
	v_mul_f32_e32 v26, v45, v26
	;; [unrolled: 1-line block ×3, first 2 shown]
	v_sub_f32_e32 v36, v21, v33
	v_fma_f32 v30, v50, v31, -v24
	v_fma_f32 v26, v44, v27, -v26
	;; [unrolled: 1-line block ×3, first 2 shown]
	v_mul_f32_e32 v36, 0x3d64c772, v36
	v_add_f32_e32 v24, v30, v34
	v_add_f32_e32 v27, v23, v26
	v_sub_f32_e32 v28, v0, v21
	v_mov_b32_e32 v45, v36
	v_add_f32_e32 v42, v39, v38
	v_sub_f32_e32 v22, v24, v27
	v_mul_f32_e32 v29, 0x3f4a47b2, v28
	v_fmac_f32_e32 v45, 0x3f4a47b2, v28
	v_add_f32_e32 v28, v0, v33
	v_mul_f32_e32 v43, 0x3d64c772, v22
	v_add_f32_e32 v22, v42, v27
	v_add_f32_e32 v28, v21, v28
	v_sub_f32_e32 v31, v42, v24
	v_add_f32_e32 v24, v24, v22
	s_waitcnt lgkmcnt(0)
	v_add_f32_e32 v21, v28, v58
	v_mul_f32_e32 v40, 0x3f08b237, v40
	v_mov_b32_e32 v44, v43
	v_add_f32_e32 v22, v24, v59
	v_mov_b32_e32 v46, v21
	v_sub_f32_e32 v37, v37, v25
	v_mov_b32_e32 v41, v40
	v_mul_f32_e32 v35, 0x3f4a47b2, v31
	v_fmac_f32_e32 v44, 0x3f4a47b2, v31
	v_mov_b32_e32 v31, v22
	v_fmac_f32_e32 v46, 0xbf955555, v28
	v_sub_f32_e32 v28, v39, v38
	v_sub_f32_e32 v30, v30, v34
	;; [unrolled: 1-line block ×3, first 2 shown]
	v_mul_f32_e32 v25, 0xbf5ff5aa, v37
	v_sub_f32_e32 v27, v27, v42
	v_fmac_f32_e32 v41, 0xbeae86e6, v32
	v_fmac_f32_e32 v31, 0xbf955555, v24
	v_sub_f32_e32 v23, v30, v38
	v_fma_f32 v32, v32, s1, -v25
	v_fma_f32 v25, v27, s2, -v35
	v_sub_f32_e32 v0, v33, v0
	v_mul_f32_e32 v39, 0x3f08b237, v23
	v_add_f32_e32 v35, v25, v31
	v_fma_f32 v25, v0, s2, -v29
	v_sub_f32_e32 v29, v38, v28
	v_add_f32_e32 v33, v25, v46
	v_mul_f32_e32 v25, 0xbf5ff5aa, v29
	v_fma_f32 v37, v37, s0, -v40
	v_fma_f32 v29, v29, s0, -v39
	s_mov_b32 s0, 0x4ec4ec4f
	v_fma_f32 v0, v0, s3, -v36
	v_mul_hi_u32 v36, v3, s0
	v_add_f32_e32 v23, v30, v38
	v_sub_f32_e32 v34, v28, v30
	v_add_f32_e32 v30, v28, v23
	v_fma_f32 v27, v27, s3, -v43
	v_add_f32_e32 v0, v0, v46
	v_fmac_f32_e32 v29, 0xbee1c552, v30
	v_add_f32_e32 v44, v44, v31
	v_add_f32_e32 v31, v27, v31
	v_add_f32_e32 v27, v29, v0
	v_sub_f32_e32 v29, v0, v29
	v_lshrrev_b32_e32 v0, 3, v36
	v_mul_lo_u32 v0, v0, 26
	v_fmac_f32_e32 v32, 0xbee1c552, v56
	v_add_f32_e32 v26, v32, v35
	v_sub_f32_e32 v32, v35, v32
	v_sub_u32_e32 v35, v3, v0
	v_mov_b32_e32 v0, s11
	v_addc_co_u32_e32 v6, vcc, v0, v6, vcc
	v_lshlrev_b64 v[0:1], 3, v[1:2]
	v_add_u32_e32 v2, 13, v3
	v_mul_hi_u32 v3, v2, s0
	v_add_co_u32_e32 v5, vcc, v5, v0
	v_mov_b32_e32 v47, v39
	v_addc_co_u32_e32 v6, vcc, v6, v1, vcc
	v_lshlrev_b32_e32 v0, 3, v35
	v_fmac_f32_e32 v47, 0xbeae86e6, v34
	v_fma_f32 v34, v34, s1, -v25
	v_add_co_u32_e32 v0, vcc, v5, v0
	v_fmac_f32_e32 v41, 0xbee1c552, v56
	v_add_f32_e32 v45, v45, v46
	v_fmac_f32_e32 v47, 0xbee1c552, v30
	v_fmac_f32_e32 v34, 0xbee1c552, v30
	;; [unrolled: 1-line block ×3, first 2 shown]
	v_addc_co_u32_e32 v1, vcc, 0, v6, vcc
	v_lshrrev_b32_e32 v3, 3, v3
	v_sub_f32_e32 v25, v33, v34
	v_sub_f32_e32 v28, v31, v37
	v_add_f32_e32 v30, v37, v31
	v_add_f32_e32 v31, v34, v33
	v_sub_f32_e32 v34, v44, v41
	v_add_f32_e32 v33, v47, v45
	global_store_dwordx2 v[0:1], v[21:22], off
	global_store_dwordx2 v[0:1], v[33:34], off offset:208
	v_mul_lo_u32 v21, v3, 26
	s_movk_i32 s0, 0xb6
	v_add_f32_e32 v24, v41, v44
	v_sub_f32_e32 v23, v45, v47
	v_sub_u32_e32 v2, v2, v21
	v_mad_u64_u32 v[2:3], s[0:1], v3, s0, v[2:3]
	v_mov_b32_e32 v3, v4
	global_store_dwordx2 v[0:1], v[31:32], off offset:416
	global_store_dwordx2 v[0:1], v[29:30], off offset:624
	;; [unrolled: 1-line block ×5, first 2 shown]
	v_lshlrev_b64 v[0:1], 3, v[2:3]
	v_add_u32_e32 v3, 26, v2
	v_add_co_u32_e32 v0, vcc, v5, v0
	v_addc_co_u32_e32 v1, vcc, v6, v1, vcc
	global_store_dwordx2 v[0:1], v[7:8], off
	v_lshlrev_b64 v[0:1], 3, v[3:4]
	v_add_u32_e32 v3, 52, v2
	v_add_co_u32_e32 v0, vcc, v5, v0
	v_addc_co_u32_e32 v1, vcc, v6, v1, vcc
	global_store_dwordx2 v[0:1], v[19:20], off
	;; [unrolled: 5-line block ×6, first 2 shown]
	v_lshlrev_b64 v[0:1], 3, v[3:4]
	v_add_co_u32_e32 v0, vcc, v5, v0
	v_addc_co_u32_e32 v1, vcc, v6, v1, vcc
	global_store_dwordx2 v[0:1], v[9:10], off
.LBB0_19:
	s_endpgm
	.section	.rodata,"a",@progbits
	.p2align	6, 0x0
	.amdhsa_kernel fft_rtc_back_len182_factors_13_2_7_wgs_52_tpt_13_sp_op_CI_CI_unitstride_sbrr_dirReg
		.amdhsa_group_segment_fixed_size 0
		.amdhsa_private_segment_fixed_size 0
		.amdhsa_kernarg_size 104
		.amdhsa_user_sgpr_count 6
		.amdhsa_user_sgpr_private_segment_buffer 1
		.amdhsa_user_sgpr_dispatch_ptr 0
		.amdhsa_user_sgpr_queue_ptr 0
		.amdhsa_user_sgpr_kernarg_segment_ptr 1
		.amdhsa_user_sgpr_dispatch_id 0
		.amdhsa_user_sgpr_flat_scratch_init 0
		.amdhsa_user_sgpr_private_segment_size 0
		.amdhsa_uses_dynamic_stack 0
		.amdhsa_system_sgpr_private_segment_wavefront_offset 0
		.amdhsa_system_sgpr_workgroup_id_x 1
		.amdhsa_system_sgpr_workgroup_id_y 0
		.amdhsa_system_sgpr_workgroup_id_z 0
		.amdhsa_system_sgpr_workgroup_info 0
		.amdhsa_system_vgpr_workitem_id 0
		.amdhsa_next_free_vgpr 111
		.amdhsa_next_free_sgpr 28
		.amdhsa_reserve_vcc 1
		.amdhsa_reserve_flat_scratch 0
		.amdhsa_float_round_mode_32 0
		.amdhsa_float_round_mode_16_64 0
		.amdhsa_float_denorm_mode_32 3
		.amdhsa_float_denorm_mode_16_64 3
		.amdhsa_dx10_clamp 1
		.amdhsa_ieee_mode 1
		.amdhsa_fp16_overflow 0
		.amdhsa_exception_fp_ieee_invalid_op 0
		.amdhsa_exception_fp_denorm_src 0
		.amdhsa_exception_fp_ieee_div_zero 0
		.amdhsa_exception_fp_ieee_overflow 0
		.amdhsa_exception_fp_ieee_underflow 0
		.amdhsa_exception_fp_ieee_inexact 0
		.amdhsa_exception_int_div_zero 0
	.end_amdhsa_kernel
	.text
.Lfunc_end0:
	.size	fft_rtc_back_len182_factors_13_2_7_wgs_52_tpt_13_sp_op_CI_CI_unitstride_sbrr_dirReg, .Lfunc_end0-fft_rtc_back_len182_factors_13_2_7_wgs_52_tpt_13_sp_op_CI_CI_unitstride_sbrr_dirReg
                                        ; -- End function
	.section	.AMDGPU.csdata,"",@progbits
; Kernel info:
; codeLenInByte = 9664
; NumSgprs: 32
; NumVgprs: 111
; ScratchSize: 0
; MemoryBound: 0
; FloatMode: 240
; IeeeMode: 1
; LDSByteSize: 0 bytes/workgroup (compile time only)
; SGPRBlocks: 3
; VGPRBlocks: 27
; NumSGPRsForWavesPerEU: 32
; NumVGPRsForWavesPerEU: 111
; Occupancy: 2
; WaveLimiterHint : 1
; COMPUTE_PGM_RSRC2:SCRATCH_EN: 0
; COMPUTE_PGM_RSRC2:USER_SGPR: 6
; COMPUTE_PGM_RSRC2:TRAP_HANDLER: 0
; COMPUTE_PGM_RSRC2:TGID_X_EN: 1
; COMPUTE_PGM_RSRC2:TGID_Y_EN: 0
; COMPUTE_PGM_RSRC2:TGID_Z_EN: 0
; COMPUTE_PGM_RSRC2:TIDIG_COMP_CNT: 0
	.type	__hip_cuid_db2332fe4b4f9e0f,@object ; @__hip_cuid_db2332fe4b4f9e0f
	.section	.bss,"aw",@nobits
	.globl	__hip_cuid_db2332fe4b4f9e0f
__hip_cuid_db2332fe4b4f9e0f:
	.byte	0                               ; 0x0
	.size	__hip_cuid_db2332fe4b4f9e0f, 1

	.ident	"AMD clang version 19.0.0git (https://github.com/RadeonOpenCompute/llvm-project roc-6.4.0 25133 c7fe45cf4b819c5991fe208aaa96edf142730f1d)"
	.section	".note.GNU-stack","",@progbits
	.addrsig
	.addrsig_sym __hip_cuid_db2332fe4b4f9e0f
	.amdgpu_metadata
---
amdhsa.kernels:
  - .args:
      - .actual_access:  read_only
        .address_space:  global
        .offset:         0
        .size:           8
        .value_kind:     global_buffer
      - .offset:         8
        .size:           8
        .value_kind:     by_value
      - .actual_access:  read_only
        .address_space:  global
        .offset:         16
        .size:           8
        .value_kind:     global_buffer
      - .actual_access:  read_only
        .address_space:  global
        .offset:         24
        .size:           8
        .value_kind:     global_buffer
      - .actual_access:  read_only
        .address_space:  global
        .offset:         32
        .size:           8
        .value_kind:     global_buffer
      - .offset:         40
        .size:           8
        .value_kind:     by_value
      - .actual_access:  read_only
        .address_space:  global
        .offset:         48
        .size:           8
        .value_kind:     global_buffer
      - .actual_access:  read_only
        .address_space:  global
        .offset:         56
        .size:           8
        .value_kind:     global_buffer
      - .offset:         64
        .size:           4
        .value_kind:     by_value
      - .actual_access:  read_only
        .address_space:  global
        .offset:         72
        .size:           8
        .value_kind:     global_buffer
      - .actual_access:  read_only
        .address_space:  global
        .offset:         80
        .size:           8
        .value_kind:     global_buffer
      - .actual_access:  read_only
        .address_space:  global
        .offset:         88
        .size:           8
        .value_kind:     global_buffer
      - .actual_access:  write_only
        .address_space:  global
        .offset:         96
        .size:           8
        .value_kind:     global_buffer
    .group_segment_fixed_size: 0
    .kernarg_segment_align: 8
    .kernarg_segment_size: 104
    .language:       OpenCL C
    .language_version:
      - 2
      - 0
    .max_flat_workgroup_size: 52
    .name:           fft_rtc_back_len182_factors_13_2_7_wgs_52_tpt_13_sp_op_CI_CI_unitstride_sbrr_dirReg
    .private_segment_fixed_size: 0
    .sgpr_count:     32
    .sgpr_spill_count: 0
    .symbol:         fft_rtc_back_len182_factors_13_2_7_wgs_52_tpt_13_sp_op_CI_CI_unitstride_sbrr_dirReg.kd
    .uniform_work_group_size: 1
    .uses_dynamic_stack: false
    .vgpr_count:     111
    .vgpr_spill_count: 0
    .wavefront_size: 64
amdhsa.target:   amdgcn-amd-amdhsa--gfx906
amdhsa.version:
  - 1
  - 2
...

	.end_amdgpu_metadata
